;; amdgpu-corpus repo=ROCm/rocFFT kind=compiled arch=gfx906 opt=O3
	.text
	.amdgcn_target "amdgcn-amd-amdhsa--gfx906"
	.amdhsa_code_object_version 6
	.protected	bluestein_single_fwd_len225_dim1_dp_op_CI_CI ; -- Begin function bluestein_single_fwd_len225_dim1_dp_op_CI_CI
	.globl	bluestein_single_fwd_len225_dim1_dp_op_CI_CI
	.p2align	8
	.type	bluestein_single_fwd_len225_dim1_dp_op_CI_CI,@function
bluestein_single_fwd_len225_dim1_dp_op_CI_CI: ; @bluestein_single_fwd_len225_dim1_dp_op_CI_CI
; %bb.0:
	v_mul_u32_u24_e32 v1, 0x36a, v0
	s_load_dwordx4 s[0:3], s[4:5], 0x28
	v_lshrrev_b32_e32 v1, 16, v1
	v_mad_u64_u32 v[56:57], s[6:7], s6, 3, v[1:2]
	v_mov_b32_e32 v57, 0
	s_waitcnt lgkmcnt(0)
	v_cmp_gt_u64_e32 vcc, s[0:1], v[56:57]
	s_and_saveexec_b64 s[0:1], vcc
	s_cbranch_execz .LBB0_23
; %bb.1:
	s_mov_b32 s0, 0xaaaaaaab
	v_mul_hi_u32 v2, v56, s0
	v_mul_lo_u16_e32 v1, 0x4b, v1
	s_load_dwordx2 s[12:13], s[4:5], 0x0
	s_load_dwordx2 s[6:7], s[4:5], 0x38
	v_sub_u16_e32 v69, v0, v1
	v_lshrrev_b32_e32 v0, 1, v2
	v_lshl_add_u32 v0, v0, 1, v0
	v_sub_u32_e32 v0, v56, v0
	v_mul_u32_u24_e32 v70, 0xe1, v0
	v_cmp_gt_u16_e32 vcc, 45, v69
	v_lshlrev_b32_e32 v71, 4, v69
	v_lshlrev_b32_e32 v72, 4, v70
	s_and_saveexec_b64 s[14:15], vcc
	s_cbranch_execz .LBB0_3
; %bb.2:
	s_load_dwordx2 s[0:1], s[4:5], 0x18
	s_waitcnt lgkmcnt(0)
	s_load_dwordx4 s[8:11], s[0:1], 0x0
	s_waitcnt lgkmcnt(0)
	v_mad_u64_u32 v[0:1], s[0:1], s10, v56, 0
	v_mad_u64_u32 v[2:3], s[0:1], s8, v69, 0
	;; [unrolled: 1-line block ×4, first 2 shown]
	v_mov_b32_e32 v1, v4
	v_lshlrev_b64 v[0:1], 4, v[0:1]
	v_mov_b32_e32 v3, v5
	v_mov_b32_e32 v6, s3
	v_lshlrev_b64 v[2:3], 4, v[2:3]
	v_add_co_u32_e64 v0, s[0:1], s2, v0
	v_addc_co_u32_e64 v1, s[0:1], v6, v1, s[0:1]
	v_add_co_u32_e64 v16, s[0:1], v0, v2
	v_addc_co_u32_e64 v17, s[0:1], v1, v3, s[0:1]
	s_mul_i32 s0, s9, 0x2d0
	s_mul_hi_u32 s1, s8, 0x2d0
	s_add_i32 s2, s1, s0
	s_mul_i32 s3, s8, 0x2d0
	v_mov_b32_e32 v0, s2
	v_add_co_u32_e64 v18, s[0:1], s3, v16
	v_addc_co_u32_e64 v19, s[0:1], v17, v0, s[0:1]
	global_load_dwordx4 v[0:3], v71, s[12:13]
	global_load_dwordx4 v[4:7], v71, s[12:13] offset:720
	global_load_dwordx4 v[8:11], v[16:17], off
	global_load_dwordx4 v[12:15], v[18:19], off
	v_mov_b32_e32 v16, s2
	v_add_co_u32_e64 v36, s[0:1], s3, v18
	v_addc_co_u32_e64 v37, s[0:1], v19, v16, s[0:1]
	v_mov_b32_e32 v24, s2
	v_add_co_u32_e64 v38, s[0:1], s3, v36
	v_addc_co_u32_e64 v39, s[0:1], v37, v24, s[0:1]
	global_load_dwordx4 v[16:19], v71, s[12:13] offset:1440
	global_load_dwordx4 v[20:23], v71, s[12:13] offset:2160
	global_load_dwordx4 v[24:27], v[36:37], off
	global_load_dwordx4 v[28:31], v[38:39], off
	global_load_dwordx4 v[32:35], v71, s[12:13] offset:2880
	v_mov_b32_e32 v37, s2
	v_add_co_u32_e64 v36, s[0:1], s3, v38
	v_addc_co_u32_e64 v37, s[0:1], v39, v37, s[0:1]
	global_load_dwordx4 v[36:39], v[36:37], off
	s_waitcnt vmcnt(7)
	v_mul_f64 v[40:41], v[10:11], v[2:3]
	v_mul_f64 v[2:3], v[8:9], v[2:3]
	s_waitcnt vmcnt(6)
	v_mul_f64 v[42:43], v[14:15], v[6:7]
	v_mul_f64 v[44:45], v[12:13], v[6:7]
	v_fma_f64 v[6:7], v[8:9], v[0:1], v[40:41]
	v_fma_f64 v[8:9], v[10:11], v[0:1], -v[2:3]
	v_fma_f64 v[0:1], v[12:13], v[4:5], v[42:43]
	s_waitcnt vmcnt(3)
	v_mul_f64 v[46:47], v[26:27], v[18:19]
	v_mul_f64 v[18:19], v[24:25], v[18:19]
	s_waitcnt vmcnt(2)
	v_mul_f64 v[48:49], v[30:31], v[22:23]
	v_mul_f64 v[22:23], v[28:29], v[22:23]
	v_fma_f64 v[2:3], v[14:15], v[4:5], -v[44:45]
	v_lshl_add_u32 v4, v69, 4, v72
	ds_write_b128 v4, v[6:9]
	v_add_u32_e32 v4, v72, v71
	s_waitcnt vmcnt(0)
	v_mul_f64 v[50:51], v[38:39], v[34:35]
	v_mul_f64 v[34:35], v[36:37], v[34:35]
	v_fma_f64 v[10:11], v[24:25], v[16:17], v[46:47]
	v_fma_f64 v[12:13], v[26:27], v[16:17], -v[18:19]
	v_fma_f64 v[14:15], v[28:29], v[20:21], v[48:49]
	v_fma_f64 v[16:17], v[30:31], v[20:21], -v[22:23]
	;; [unrolled: 2-line block ×3, first 2 shown]
	ds_write_b128 v4, v[0:3] offset:720
	ds_write_b128 v4, v[10:13] offset:1440
	;; [unrolled: 1-line block ×4, first 2 shown]
.LBB0_3:
	s_or_b64 exec, exec, s[14:15]
	s_waitcnt lgkmcnt(0)
	s_barrier
	s_waitcnt lgkmcnt(0)
                                        ; implicit-def: $vgpr0_vgpr1
                                        ; implicit-def: $vgpr4_vgpr5
                                        ; implicit-def: $vgpr8_vgpr9
                                        ; implicit-def: $vgpr12_vgpr13
                                        ; implicit-def: $vgpr16_vgpr17
	s_and_saveexec_b64 s[0:1], vcc
	s_cbranch_execz .LBB0_5
; %bb.4:
	v_lshl_add_u32 v16, v70, 4, v71
	ds_read_b128 v[0:3], v16
	ds_read_b128 v[4:7], v16 offset:720
	ds_read_b128 v[8:11], v16 offset:1440
	;; [unrolled: 1-line block ×4, first 2 shown]
.LBB0_5:
	s_or_b64 exec, exec, s[0:1]
	s_waitcnt lgkmcnt(3)
	v_add_f64 v[20:21], v[0:1], v[4:5]
	v_add_f64 v[22:23], v[2:3], v[6:7]
	s_waitcnt lgkmcnt(1)
	v_add_f64 v[24:25], v[8:9], v[12:13]
	s_waitcnt lgkmcnt(0)
	v_add_f64 v[38:39], v[4:5], v[16:17]
	v_add_f64 v[26:27], v[10:11], -v[14:15]
	v_add_f64 v[28:29], v[4:5], -v[8:9]
	v_add_f64 v[32:33], v[10:11], v[14:15]
	v_add_f64 v[34:35], v[6:7], -v[10:11]
	v_add_f64 v[20:21], v[20:21], v[8:9]
	v_add_f64 v[22:23], v[22:23], v[10:11]
	v_add_f64 v[10:11], v[10:11], -v[6:7]
	v_add_f64 v[36:37], v[6:7], -v[18:19]
	v_add_f64 v[6:7], v[6:7], v[18:19]
	v_add_f64 v[40:41], v[16:17], -v[12:13]
	v_fma_f64 v[24:25], v[24:25], -0.5, v[0:1]
	v_fma_f64 v[0:1], v[38:39], -0.5, v[0:1]
	v_add_f64 v[20:21], v[20:21], v[12:13]
	v_add_f64 v[22:23], v[22:23], v[14:15]
	s_mov_b32 s0, 0x134454ff
	s_mov_b32 s1, 0x3fee6f0e
	;; [unrolled: 1-line block ×4, first 2 shown]
	v_add_f64 v[30:31], v[8:9], -v[4:5]
	v_add_f64 v[8:9], v[8:9], -v[12:13]
	v_add_f64 v[4:5], v[4:5], -v[16:17]
	v_add_f64 v[12:13], v[12:13], -v[16:17]
	v_add_f64 v[42:43], v[18:19], -v[14:15]
	v_add_f64 v[14:15], v[14:15], -v[18:19]
	v_add_f64 v[16:17], v[20:21], v[16:17]
	v_add_f64 v[18:19], v[22:23], v[18:19]
	v_fma_f64 v[20:21], v[32:33], -0.5, v[2:3]
	v_fma_f64 v[2:3], v[6:7], -0.5, v[2:3]
	v_add_f64 v[6:7], v[28:29], v[40:41]
	v_fma_f64 v[22:23], v[36:37], s[0:1], v[24:25]
	v_fma_f64 v[24:25], v[36:37], s[2:3], v[24:25]
	;; [unrolled: 1-line block ×3, first 2 shown]
	s_mov_b32 s8, 0x4755a5e
	s_mov_b32 s9, 0x3fe2cf23
	;; [unrolled: 1-line block ×4, first 2 shown]
	v_fma_f64 v[0:1], v[26:27], s[0:1], v[0:1]
	v_fma_f64 v[22:23], v[26:27], s[8:9], v[22:23]
	;; [unrolled: 1-line block ×3, first 2 shown]
	v_add_f64 v[12:13], v[30:31], v[12:13]
	v_fma_f64 v[26:27], v[36:37], s[8:9], v[28:29]
	v_fma_f64 v[28:29], v[4:5], s[2:3], v[20:21]
	;; [unrolled: 1-line block ×6, first 2 shown]
	v_add_f64 v[34:35], v[34:35], v[42:43]
	v_add_f64 v[10:11], v[10:11], v[14:15]
	s_mov_b32 s0, 0x372fe950
	v_fma_f64 v[36:37], v[8:9], s[10:11], v[28:29]
	v_fma_f64 v[8:9], v[8:9], s[8:9], v[20:21]
	;; [unrolled: 1-line block ×4, first 2 shown]
	s_mov_b32 s1, 0x3fd3c6ef
	v_fma_f64 v[20:21], v[6:7], s[0:1], v[22:23]
	v_fma_f64 v[32:33], v[6:7], s[0:1], v[24:25]
	;; [unrolled: 1-line block ×8, first 2 shown]
	s_load_dwordx2 s[8:9], s[4:5], 0x8
	v_mul_lo_u16_e32 v75, 5, v69
	s_waitcnt lgkmcnt(0)
	s_barrier
	s_and_saveexec_b64 s[0:1], vcc
	s_cbranch_execz .LBB0_7
; %bb.6:
	v_add_lshl_u32 v0, v70, v75, 4
	ds_write_b128 v0, v[16:19]
	ds_write_b128 v0, v[20:23] offset:16
	ds_write_b128 v0, v[24:27] offset:32
	;; [unrolled: 1-line block ×4, first 2 shown]
.LBB0_7:
	s_or_b64 exec, exec, s[0:1]
	s_load_dwordx2 s[0:1], s[4:5], 0x20
	v_add_lshl_u32 v73, v70, v69, 4
	s_waitcnt lgkmcnt(0)
	s_barrier
	s_and_saveexec_b64 s[2:3], vcc
	s_cbranch_execz .LBB0_9
; %bb.8:
	ds_read_b128 v[16:19], v73
	ds_read_b128 v[20:23], v73 offset:720
	ds_read_b128 v[24:27], v73 offset:1440
	;; [unrolled: 1-line block ×4, first 2 shown]
.LBB0_9:
	s_or_b64 exec, exec, s[2:3]
	s_movk_i32 s2, 0xcd
	v_mul_lo_u16_sdwa v0, v69, s2 dst_sel:DWORD dst_unused:UNUSED_PAD src0_sel:BYTE_0 src1_sel:DWORD
	v_lshrrev_b16_e32 v88, 10, v0
	v_mul_lo_u16_e32 v0, 5, v88
	v_sub_u16_e32 v74, v69, v0
	v_mov_b32_e32 v0, 6
	v_lshlrev_b32_sdwa v36, v0, v74 dst_sel:DWORD dst_unused:UNUSED_PAD src0_sel:DWORD src1_sel:BYTE_0
	global_load_dwordx4 v[0:3], v36, s[8:9]
	global_load_dwordx4 v[12:15], v36, s[8:9] offset:16
	global_load_dwordx4 v[8:11], v36, s[8:9] offset:32
	;; [unrolled: 1-line block ×3, first 2 shown]
	s_mov_b32 s2, 0x134454ff
	s_mov_b32 s3, 0x3fee6f0e
	;; [unrolled: 1-line block ×8, first 2 shown]
	s_waitcnt vmcnt(0) lgkmcnt(0)
	s_barrier
	v_mul_f64 v[36:37], v[20:21], v[2:3]
	v_mul_f64 v[38:39], v[26:27], v[14:15]
	;; [unrolled: 1-line block ×8, first 2 shown]
	v_fma_f64 v[44:45], v[22:23], v[0:1], v[36:37]
	v_fma_f64 v[40:41], v[24:25], v[12:13], -v[38:39]
	v_fma_f64 v[24:25], v[28:29], v[8:9], -v[42:43]
	v_fma_f64 v[22:23], v[34:35], v[4:5], v[46:47]
	v_fma_f64 v[42:43], v[20:21], v[0:1], -v[48:49]
	v_fma_f64 v[20:21], v[32:33], v[4:5], -v[50:51]
	v_fma_f64 v[28:29], v[26:27], v[12:13], v[52:53]
	v_fma_f64 v[26:27], v[30:31], v[8:9], v[54:55]
	v_add_f64 v[32:33], v[40:41], v[24:25]
	v_add_f64 v[59:60], v[44:45], v[22:23]
	v_add_f64 v[30:31], v[44:45], -v[22:23]
	v_add_f64 v[57:58], v[42:43], v[20:21]
	v_add_f64 v[50:51], v[42:43], -v[20:21]
	;; [unrolled: 2-line block ×3, first 2 shown]
	v_add_f64 v[54:55], v[40:41], -v[24:25]
	v_fma_f64 v[46:47], v[32:33], -0.5, v[16:17]
	v_add_f64 v[34:35], v[42:43], -v[40:41]
	v_add_f64 v[36:37], v[20:21], -v[24:25]
	;; [unrolled: 1-line block ×4, first 2 shown]
	v_fma_f64 v[52:53], v[48:49], -0.5, v[18:19]
	v_fma_f64 v[48:49], v[57:58], -0.5, v[16:17]
	;; [unrolled: 1-line block ×3, first 2 shown]
	v_add_f64 v[32:33], v[44:45], -v[28:29]
	v_add_f64 v[59:60], v[22:23], -v[26:27]
	;; [unrolled: 1-line block ×4, first 2 shown]
	v_fma_f64 v[80:81], v[30:31], s[10:11], v[46:47]
	v_fma_f64 v[82:83], v[50:51], s[2:3], v[52:53]
	v_fma_f64 v[84:85], v[65:66], s[2:3], v[48:49]
	v_fma_f64 v[86:87], v[54:55], s[10:11], v[57:58]
	v_add_f64 v[67:68], v[34:35], v[36:37]
	v_add_f64 v[63:64], v[38:39], v[61:62]
	;; [unrolled: 1-line block ×4, first 2 shown]
	v_fma_f64 v[32:33], v[65:66], s[14:15], v[80:81]
	v_fma_f64 v[34:35], v[54:55], s[4:5], v[82:83]
	;; [unrolled: 1-line block ×4, first 2 shown]
	s_mov_b32 s14, 0x372fe950
	s_mov_b32 s15, 0x3fd3c6ef
	v_mul_u32_u24_e32 v76, 25, v88
	v_fma_f64 v[32:33], v[67:68], s[14:15], v[32:33]
	v_fma_f64 v[34:35], v[59:60], s[14:15], v[34:35]
	;; [unrolled: 1-line block ×4, first 2 shown]
	s_and_saveexec_b64 s[10:11], vcc
	s_cbranch_execz .LBB0_11
; %bb.10:
	v_add_f64 v[18:19], v[18:19], v[44:45]
	v_add_f64 v[16:17], v[16:17], v[42:43]
	v_mul_f64 v[77:78], v[30:31], s[2:3]
	v_mul_f64 v[83:84], v[50:51], s[2:3]
	;; [unrolled: 1-line block ×6, first 2 shown]
	v_add_f64 v[18:19], v[18:19], v[28:29]
	v_add_f64 v[16:17], v[16:17], v[40:41]
	;; [unrolled: 1-line block ×3, first 2 shown]
	v_add_f64 v[52:53], v[52:53], -v[83:84]
	v_mul_f64 v[30:31], v[30:31], s[4:5]
	v_mul_f64 v[50:51], v[50:51], s[4:5]
	v_add_f64 v[54:55], v[81:82], v[57:58]
	v_add_f64 v[40:41], v[48:49], -v[65:66]
	v_add_f64 v[26:27], v[18:19], v[26:27]
	v_add_f64 v[16:17], v[16:17], v[24:25]
	v_mul_f64 v[67:68], v[67:68], s[14:15]
	v_mul_f64 v[46:47], v[59:60], s[14:15]
	v_add_f64 v[44:45], v[52:53], -v[44:45]
	v_add_f64 v[52:53], v[79:80], v[28:29]
	v_mul_f64 v[42:43], v[63:64], s[14:15]
	v_mul_f64 v[48:49], v[61:62], s[14:15]
	v_add_f64 v[50:51], v[54:55], -v[50:51]
	v_add_f64 v[30:31], v[30:31], v[40:41]
	v_add_f64 v[28:29], v[26:27], v[22:23]
	;; [unrolled: 1-line block ×5, first 2 shown]
	v_add_u32_sdwa v20, v76, v74 dst_sel:DWORD dst_unused:UNUSED_PAD src0_sel:DWORD src1_sel:BYTE_0
	v_add_lshl_u32 v20, v70, v20, 4
	v_add_f64 v[18:19], v[48:49], v[50:51]
	v_add_f64 v[16:17], v[42:43], v[30:31]
	ds_write_b128 v20, v[26:29]
	ds_write_b128 v20, v[22:25] offset:80
	ds_write_b128 v20, v[16:19] offset:160
	;; [unrolled: 1-line block ×4, first 2 shown]
.LBB0_11:
	s_or_b64 exec, exec, s[10:11]
	v_mov_b32_e32 v16, 41
	v_mul_lo_u16_sdwa v16, v69, v16 dst_sel:DWORD dst_unused:UNUSED_PAD src0_sel:BYTE_0 src1_sel:DWORD
	v_lshrrev_b16_e32 v54, 10, v16
	v_mul_lo_u16_e32 v16, 25, v54
	v_sub_u16_e32 v55, v69, v16
	v_mov_b32_e32 v16, 5
	v_lshlrev_b32_sdwa v24, v16, v55 dst_sel:DWORD dst_unused:UNUSED_PAD src0_sel:DWORD src1_sel:BYTE_0
	s_load_dwordx4 s[0:3], s[0:1], 0x0
	s_waitcnt lgkmcnt(0)
	s_barrier
	global_load_dwordx4 v[20:23], v24, s[8:9] offset:320
	global_load_dwordx4 v[16:19], v24, s[8:9] offset:336
	ds_read_b128 v[24:27], v73 offset:1200
	ds_read_b128 v[28:31], v73 offset:2400
	s_mov_b32 s4, 0xe8584caa
	s_mov_b32 s5, 0x3febb67a
	;; [unrolled: 1-line block ×4, first 2 shown]
	v_mul_u32_u24_e32 v54, 0x4b, v54
	v_lshlrev_b32_e32 v57, 5, v69
	s_waitcnt vmcnt(1) lgkmcnt(1)
	v_mul_f64 v[40:41], v[26:27], v[22:23]
	v_mul_f64 v[42:43], v[24:25], v[22:23]
	s_waitcnt vmcnt(0) lgkmcnt(0)
	v_mul_f64 v[44:45], v[30:31], v[18:19]
	v_mul_f64 v[46:47], v[28:29], v[18:19]
	v_fma_f64 v[40:41], v[24:25], v[20:21], -v[40:41]
	v_fma_f64 v[42:43], v[26:27], v[20:21], v[42:43]
	v_fma_f64 v[28:29], v[28:29], v[16:17], -v[44:45]
	v_fma_f64 v[30:31], v[30:31], v[16:17], v[46:47]
	ds_read_b128 v[24:27], v73
	s_waitcnt lgkmcnt(0)
	s_barrier
	v_add_f64 v[48:49], v[24:25], v[40:41]
	v_add_f64 v[44:45], v[40:41], v[28:29]
	;; [unrolled: 1-line block ×3, first 2 shown]
	v_add_f64 v[50:51], v[42:43], -v[30:31]
	v_add_f64 v[42:43], v[26:27], v[42:43]
	v_add_f64 v[52:53], v[40:41], -v[28:29]
	v_fma_f64 v[44:45], v[44:45], -0.5, v[24:25]
	v_fma_f64 v[46:47], v[46:47], -0.5, v[26:27]
	v_add_f64 v[24:25], v[48:49], v[28:29]
	v_add_f64 v[26:27], v[42:43], v[30:31]
	v_fma_f64 v[28:29], v[50:51], s[4:5], v[44:45]
	v_fma_f64 v[30:31], v[52:53], s[10:11], v[46:47]
	;; [unrolled: 1-line block ×4, first 2 shown]
	v_add_u32_sdwa v44, v54, v55 dst_sel:DWORD dst_unused:UNUSED_PAD src0_sel:DWORD src1_sel:BYTE_0
	v_add_lshl_u32 v58, v70, v44, 4
	ds_write_b128 v58, v[24:27]
	ds_write_b128 v58, v[28:31] offset:400
	ds_write_b128 v58, v[40:43] offset:800
	s_waitcnt lgkmcnt(0)
	s_barrier
	global_load_dwordx4 v[28:31], v57, s[8:9] offset:1120
	global_load_dwordx4 v[24:27], v57, s[8:9] offset:1136
	ds_read_b128 v[40:43], v73 offset:1200
	ds_read_b128 v[44:47], v73 offset:2400
	v_lshl_add_u32 v57, v69, 4, v72
	s_waitcnt vmcnt(1) lgkmcnt(1)
	v_mul_f64 v[48:49], v[42:43], v[30:31]
	s_waitcnt vmcnt(0) lgkmcnt(0)
	v_mul_f64 v[50:51], v[46:47], v[26:27]
	v_mul_f64 v[52:53], v[40:41], v[30:31]
	;; [unrolled: 1-line block ×3, first 2 shown]
	v_fma_f64 v[48:49], v[40:41], v[28:29], -v[48:49]
	v_fma_f64 v[44:45], v[44:45], v[24:25], -v[50:51]
	v_fma_f64 v[50:51], v[42:43], v[28:29], v[52:53]
	v_fma_f64 v[46:47], v[46:47], v[24:25], v[54:55]
	ds_read_b128 v[40:43], v73
	v_add_f64 v[52:53], v[48:49], v[44:45]
	s_waitcnt lgkmcnt(0)
	v_add_f64 v[59:60], v[40:41], v[48:49]
	v_add_f64 v[54:55], v[50:51], v[46:47]
	v_add_f64 v[61:62], v[50:51], -v[46:47]
	v_add_f64 v[50:51], v[42:43], v[50:51]
	v_add_f64 v[63:64], v[48:49], -v[44:45]
	v_fma_f64 v[52:53], v[52:53], -0.5, v[40:41]
	v_add_f64 v[40:41], v[59:60], v[44:45]
	v_fma_f64 v[54:55], v[54:55], -0.5, v[42:43]
	v_add_f64 v[42:43], v[50:51], v[46:47]
	v_fma_f64 v[44:45], v[61:62], s[4:5], v[52:53]
	v_fma_f64 v[48:49], v[61:62], s[10:11], v[52:53]
	v_fma_f64 v[46:47], v[63:64], s[10:11], v[54:55]
	v_fma_f64 v[50:51], v[63:64], s[4:5], v[54:55]
	ds_write_b128 v57, v[40:43]
	ds_write_b128 v57, v[44:47] offset:1200
	ds_write_b128 v57, v[48:51] offset:2400
	s_waitcnt lgkmcnt(0)
	s_barrier
	s_and_saveexec_b64 s[4:5], vcc
	s_cbranch_execz .LBB0_13
; %bb.12:
	global_load_dwordx4 v[52:55], v71, s[12:13] offset:3600
	s_add_u32 s8, s12, 0xe10
	s_addc_u32 s9, s13, 0
	global_load_dwordx4 v[59:62], v71, s[8:9] offset:720
	global_load_dwordx4 v[63:66], v71, s[8:9] offset:1440
	global_load_dwordx4 v[77:80], v71, s[8:9] offset:2160
	global_load_dwordx4 v[81:84], v71, s[8:9] offset:2880
	ds_read_b128 v[85:88], v57
	ds_read_b128 v[89:92], v57 offset:720
	ds_read_b128 v[93:96], v57 offset:1440
	;; [unrolled: 1-line block ×4, first 2 shown]
	s_waitcnt vmcnt(3) lgkmcnt(3)
	v_mul_f64 v[105:106], v[91:92], v[61:62]
	v_mul_f64 v[67:68], v[87:88], v[54:55]
	;; [unrolled: 1-line block ×4, first 2 shown]
	s_waitcnt vmcnt(2) lgkmcnt(2)
	v_mul_f64 v[107:108], v[95:96], v[65:66]
	v_mul_f64 v[109:110], v[93:94], v[65:66]
	s_waitcnt vmcnt(1) lgkmcnt(1)
	v_mul_f64 v[111:112], v[99:100], v[79:80]
	v_mul_f64 v[79:80], v[97:98], v[79:80]
	s_waitcnt vmcnt(0) lgkmcnt(0)
	v_mul_f64 v[113:114], v[103:104], v[83:84]
	v_mul_f64 v[115:116], v[101:102], v[83:84]
	v_fma_f64 v[65:66], v[85:86], v[52:53], -v[67:68]
	v_fma_f64 v[67:68], v[87:88], v[52:53], v[54:55]
	v_fma_f64 v[52:53], v[89:90], v[59:60], -v[105:106]
	v_fma_f64 v[54:55], v[91:92], v[59:60], v[61:62]
	;; [unrolled: 2-line block ×5, first 2 shown]
	ds_write_b128 v57, v[65:68]
	ds_write_b128 v57, v[52:55] offset:720
	ds_write_b128 v57, v[59:62] offset:1440
	;; [unrolled: 1-line block ×4, first 2 shown]
.LBB0_13:
	s_or_b64 exec, exec, s[4:5]
	s_waitcnt lgkmcnt(0)
	s_barrier
	s_and_saveexec_b64 s[4:5], vcc
	s_cbranch_execz .LBB0_15
; %bb.14:
	ds_read_b128 v[40:43], v57
	ds_read_b128 v[44:47], v57 offset:720
	ds_read_b128 v[48:51], v57 offset:1440
	;; [unrolled: 1-line block ×4, first 2 shown]
.LBB0_15:
	s_or_b64 exec, exec, s[4:5]
	s_waitcnt lgkmcnt(1)
	v_add_f64 v[52:53], v[48:49], v[36:37]
	v_add_f64 v[54:55], v[40:41], v[44:45]
	s_waitcnt lgkmcnt(0)
	v_add_f64 v[59:60], v[46:47], -v[34:35]
	s_mov_b32 s4, 0x134454ff
	s_mov_b32 s5, 0xbfee6f0e
	v_add_f64 v[61:62], v[50:51], -v[38:39]
	v_add_f64 v[63:64], v[44:45], -v[48:49]
	;; [unrolled: 1-line block ×3, first 2 shown]
	v_fma_f64 v[52:53], v[52:53], -0.5, v[40:41]
	v_add_f64 v[67:68], v[44:45], v[32:33]
	v_add_f64 v[54:55], v[54:55], v[48:49]
	s_mov_b32 s8, 0x4755a5e
	s_mov_b32 s9, 0xbfe2cf23
	v_add_f64 v[87:88], v[46:47], v[34:35]
	s_mov_b32 s10, 0x372fe950
	v_add_f64 v[63:64], v[63:64], v[65:66]
	v_fma_f64 v[77:78], v[59:60], s[4:5], v[52:53]
	v_fma_f64 v[67:68], v[67:68], -0.5, v[40:41]
	v_add_f64 v[40:41], v[54:55], v[36:37]
	v_add_f64 v[65:66], v[50:51], v[38:39]
	s_mov_b32 s11, 0x3fd3c6ef
	s_mov_b32 s15, 0x3fee6f0e
	;; [unrolled: 1-line block ×3, first 2 shown]
	v_add_f64 v[79:80], v[48:49], -v[44:45]
	v_fma_f64 v[54:55], v[61:62], s[8:9], v[77:78]
	v_add_f64 v[81:82], v[36:37], -v[32:33]
	v_add_f64 v[83:84], v[42:43], v[46:47]
	v_fma_f64 v[77:78], v[59:60], s[14:15], v[52:53]
	v_add_f64 v[40:41], v[40:41], v[32:33]
	v_add_f64 v[32:33], v[44:45], -v[32:33]
	v_add_f64 v[36:37], v[48:49], -v[36:37]
	s_mov_b32 s17, 0x3fe2cf23
	v_fma_f64 v[52:53], v[63:64], s[10:11], v[54:55]
	v_fma_f64 v[54:55], v[65:66], -0.5, v[42:43]
	v_fma_f64 v[42:43], v[87:88], -0.5, v[42:43]
	s_mov_b32 s16, s8
	v_fma_f64 v[85:86], v[61:62], s[14:15], v[67:68]
	v_fma_f64 v[44:45], v[61:62], s[16:17], v[77:78]
	v_add_f64 v[48:49], v[79:80], v[81:82]
	v_fma_f64 v[61:62], v[61:62], s[4:5], v[67:68]
	v_add_f64 v[67:68], v[83:84], v[50:51]
	v_fma_f64 v[77:78], v[32:33], s[14:15], v[54:55]
	v_add_f64 v[79:80], v[46:47], -v[50:51]
	v_add_f64 v[81:82], v[34:35], -v[38:39]
	v_fma_f64 v[54:55], v[32:33], s[4:5], v[54:55]
	v_fma_f64 v[83:84], v[36:37], s[4:5], v[42:43]
	v_add_f64 v[46:47], v[50:51], -v[46:47]
	v_add_f64 v[50:51], v[38:39], -v[34:35]
	v_fma_f64 v[42:43], v[36:37], s[14:15], v[42:43]
	v_fma_f64 v[65:66], v[59:60], s[8:9], v[85:86]
	;; [unrolled: 1-line block ×3, first 2 shown]
	v_add_f64 v[38:39], v[67:68], v[38:39]
	v_fma_f64 v[61:62], v[36:37], s[16:17], v[77:78]
	v_add_f64 v[67:68], v[79:80], v[81:82]
	v_fma_f64 v[77:78], v[36:37], s[8:9], v[54:55]
	v_fma_f64 v[79:80], v[32:33], s[16:17], v[83:84]
	v_add_f64 v[50:51], v[46:47], v[50:51]
	v_fma_f64 v[81:82], v[32:33], s[8:9], v[42:43]
	v_fma_f64 v[44:45], v[63:64], s[10:11], v[44:45]
	;; [unrolled: 1-line block ×4, first 2 shown]
	v_add_f64 v[42:43], v[38:39], v[34:35]
	v_fma_f64 v[54:55], v[67:68], s[10:11], v[61:62]
	v_fma_f64 v[46:47], v[67:68], s[10:11], v[77:78]
	;; [unrolled: 1-line block ×4, first 2 shown]
	s_barrier
	s_and_saveexec_b64 s[4:5], vcc
	s_cbranch_execz .LBB0_17
; %bb.16:
	v_lshl_add_u32 v48, v75, 4, v72
	ds_write_b128 v48, v[40:43]
	ds_write_b128 v48, v[52:55] offset:16
	ds_write_b128 v48, v[32:35] offset:32
	;; [unrolled: 1-line block ×4, first 2 shown]
.LBB0_17:
	s_or_b64 exec, exec, s[4:5]
	s_waitcnt lgkmcnt(0)
	s_barrier
	s_and_saveexec_b64 s[4:5], vcc
	s_cbranch_execz .LBB0_19
; %bb.18:
	ds_read_b128 v[40:43], v73
	ds_read_b128 v[52:55], v73 offset:720
	ds_read_b128 v[32:35], v73 offset:1440
	;; [unrolled: 1-line block ×4, first 2 shown]
.LBB0_19:
	s_or_b64 exec, exec, s[4:5]
	s_waitcnt lgkmcnt(0)
	s_barrier
	s_and_saveexec_b64 s[4:5], vcc
	s_cbranch_execz .LBB0_21
; %bb.20:
	v_mul_f64 v[48:49], v[2:3], v[52:53]
	v_mul_f64 v[50:51], v[6:7], v[44:45]
	;; [unrolled: 1-line block ×8, first 2 shown]
	v_fma_f64 v[48:49], v[0:1], v[54:55], -v[48:49]
	v_fma_f64 v[50:51], v[4:5], v[46:47], -v[50:51]
	s_mov_b32 s8, 0x134454ff
	v_fma_f64 v[14:15], v[12:13], v[32:33], v[14:15]
	v_fma_f64 v[32:33], v[8:9], v[36:37], v[61:62]
	v_fma_f64 v[12:13], v[12:13], v[34:35], -v[59:60]
	v_fma_f64 v[8:9], v[8:9], v[38:39], -v[10:11]
	v_fma_f64 v[0:1], v[0:1], v[52:53], v[2:3]
	v_fma_f64 v[4:5], v[4:5], v[44:45], v[6:7]
	v_add_f64 v[36:37], v[48:49], v[50:51]
	s_mov_b32 s9, 0x3fee6f0e
	s_mov_b32 s17, 0xbfee6f0e
	v_add_f64 v[10:11], v[14:15], -v[32:33]
	s_mov_b32 s16, s8
	v_add_f64 v[6:7], v[12:13], v[8:9]
	v_add_f64 v[34:35], v[12:13], -v[48:49]
	v_add_f64 v[38:39], v[0:1], -v[4:5]
	v_fma_f64 v[2:3], v[36:37], -0.5, v[42:43]
	v_add_f64 v[36:37], v[8:9], -v[50:51]
	s_mov_b32 s10, 0x4755a5e
	s_mov_b32 s11, 0xbfe2cf23
	;; [unrolled: 1-line block ×3, first 2 shown]
	v_fma_f64 v[6:7], v[6:7], -0.5, v[42:43]
	s_mov_b32 s18, s10
	v_add_f64 v[59:60], v[0:1], v[4:5]
	v_fma_f64 v[44:45], v[10:11], s[8:9], v[2:3]
	v_fma_f64 v[2:3], v[10:11], s[16:17], v[2:3]
	v_add_f64 v[34:35], v[34:35], v[36:37]
	v_add_f64 v[61:62], v[14:15], v[32:33]
	s_mov_b32 s14, 0x372fe950
	v_fma_f64 v[54:55], v[38:39], s[16:17], v[6:7]
	s_mov_b32 s15, 0x3fd3c6ef
	v_add_f64 v[46:47], v[48:49], -v[12:13]
	v_fma_f64 v[36:37], v[38:39], s[10:11], v[44:45]
	v_fma_f64 v[44:45], v[38:39], s[18:19], v[2:3]
	;; [unrolled: 1-line block ×3, first 2 shown]
	v_add_f64 v[52:53], v[50:51], -v[8:9]
	v_add_f64 v[42:43], v[42:43], v[48:49]
	v_fma_f64 v[2:3], v[34:35], s[14:15], v[36:37]
	v_fma_f64 v[6:7], v[34:35], s[14:15], v[44:45]
	v_add_f64 v[44:45], v[40:41], v[0:1]
	v_fma_f64 v[34:35], v[10:11], s[10:11], v[54:55]
	v_fma_f64 v[36:37], v[10:11], s[18:19], v[38:39]
	v_add_f64 v[10:11], v[48:49], -v[50:51]
	v_fma_f64 v[38:39], v[59:60], -0.5, v[40:41]
	v_fma_f64 v[40:41], v[61:62], -0.5, v[40:41]
	v_add_f64 v[48:49], v[12:13], -v[8:9]
	v_add_f64 v[46:47], v[46:47], v[52:53]
	v_add_f64 v[12:13], v[42:43], v[12:13]
	v_add_f64 v[42:43], v[14:15], -v[0:1]
	v_add_f64 v[52:53], v[32:33], -v[4:5]
	;; [unrolled: 1-line block ×4, first 2 shown]
	v_add_f64 v[14:15], v[44:45], v[14:15]
	v_fma_f64 v[44:45], v[10:11], s[16:17], v[40:41]
	v_fma_f64 v[59:60], v[48:49], s[8:9], v[38:39]
	v_fma_f64 v[38:39], v[48:49], s[16:17], v[38:39]
	v_fma_f64 v[40:41], v[10:11], s[8:9], v[40:41]
	v_add_f64 v[8:9], v[12:13], v[8:9]
	v_add_f64 v[42:43], v[42:43], v[52:53]
	;; [unrolled: 1-line block ×4, first 2 shown]
	v_fma_f64 v[12:13], v[48:49], s[10:11], v[44:45]
	v_fma_f64 v[44:45], v[10:11], s[10:11], v[59:60]
	;; [unrolled: 1-line block ×5, first 2 shown]
	v_add_f64 v[34:35], v[8:9], v[50:51]
	v_fma_f64 v[14:15], v[46:47], s[14:15], v[36:37]
	v_add_f64 v[32:33], v[0:1], v[4:5]
	v_fma_f64 v[12:13], v[52:53], s[14:15], v[12:13]
	v_fma_f64 v[4:5], v[42:43], s[14:15], v[44:45]
	;; [unrolled: 1-line block ×4, first 2 shown]
	v_add_u32_sdwa v36, v76, v74 dst_sel:DWORD dst_unused:UNUSED_PAD src0_sel:DWORD src1_sel:BYTE_0
	v_lshl_add_u32 v36, v36, 4, v72
	ds_write_b128 v36, v[32:35]
	ds_write_b128 v36, v[12:15] offset:80
	ds_write_b128 v36, v[4:7] offset:160
	;; [unrolled: 1-line block ×4, first 2 shown]
.LBB0_21:
	s_or_b64 exec, exec, s[4:5]
	s_waitcnt lgkmcnt(0)
	s_barrier
	ds_read_b128 v[0:3], v73 offset:1200
	ds_read_b128 v[4:7], v73 offset:2400
	s_mov_b32 s4, 0xe8584caa
	s_mov_b32 s5, 0xbfebb67a
	;; [unrolled: 1-line block ×3, first 2 shown]
	s_waitcnt lgkmcnt(1)
	v_mul_f64 v[8:9], v[22:23], v[2:3]
	v_mul_f64 v[10:11], v[22:23], v[0:1]
	s_waitcnt lgkmcnt(0)
	v_mul_f64 v[12:13], v[18:19], v[6:7]
	v_mul_f64 v[14:15], v[18:19], v[4:5]
	s_mov_b32 s8, s4
	v_fma_f64 v[8:9], v[20:21], v[0:1], v[8:9]
	v_fma_f64 v[10:11], v[20:21], v[2:3], -v[10:11]
	v_fma_f64 v[4:5], v[16:17], v[4:5], v[12:13]
	v_fma_f64 v[6:7], v[16:17], v[6:7], -v[14:15]
	ds_read_b128 v[0:3], v73
	s_waitcnt lgkmcnt(0)
	s_barrier
	v_add_f64 v[16:17], v[0:1], v[8:9]
	v_add_f64 v[12:13], v[8:9], v[4:5]
	;; [unrolled: 1-line block ×3, first 2 shown]
	v_add_f64 v[18:19], v[10:11], -v[6:7]
	v_add_f64 v[10:11], v[2:3], v[10:11]
	v_add_f64 v[20:21], v[8:9], -v[4:5]
	v_fma_f64 v[8:9], v[12:13], -0.5, v[0:1]
	v_fma_f64 v[12:13], v[14:15], -0.5, v[2:3]
	v_add_f64 v[0:1], v[16:17], v[4:5]
	v_add_f64 v[2:3], v[10:11], v[6:7]
	v_fma_f64 v[4:5], v[18:19], s[4:5], v[8:9]
	v_fma_f64 v[6:7], v[20:21], s[8:9], v[12:13]
	;; [unrolled: 1-line block ×4, first 2 shown]
	ds_write_b128 v58, v[0:3]
	ds_write_b128 v58, v[4:7] offset:400
	ds_write_b128 v58, v[8:11] offset:800
	s_waitcnt lgkmcnt(0)
	s_barrier
	ds_read_b128 v[0:3], v73 offset:1200
	ds_read_b128 v[4:7], v73 offset:2400
	s_waitcnt lgkmcnt(1)
	v_mul_f64 v[8:9], v[30:31], v[2:3]
	s_waitcnt lgkmcnt(0)
	v_mul_f64 v[10:11], v[26:27], v[6:7]
	v_mul_f64 v[12:13], v[30:31], v[0:1]
	v_mul_f64 v[14:15], v[26:27], v[4:5]
	v_fma_f64 v[8:9], v[28:29], v[0:1], v[8:9]
	v_fma_f64 v[4:5], v[24:25], v[4:5], v[10:11]
	v_fma_f64 v[10:11], v[28:29], v[2:3], -v[12:13]
	v_fma_f64 v[6:7], v[24:25], v[6:7], -v[14:15]
	ds_read_b128 v[0:3], v73
	v_add_f64 v[12:13], v[8:9], v[4:5]
	s_waitcnt lgkmcnt(0)
	v_add_f64 v[16:17], v[0:1], v[8:9]
	v_add_f64 v[14:15], v[10:11], v[6:7]
	v_add_f64 v[18:19], v[10:11], -v[6:7]
	v_add_f64 v[10:11], v[2:3], v[10:11]
	v_add_f64 v[20:21], v[8:9], -v[4:5]
	v_fma_f64 v[12:13], v[12:13], -0.5, v[0:1]
	v_add_f64 v[0:1], v[16:17], v[4:5]
	v_fma_f64 v[14:15], v[14:15], -0.5, v[2:3]
	v_add_f64 v[2:3], v[10:11], v[6:7]
	v_fma_f64 v[4:5], v[18:19], s[4:5], v[12:13]
	v_fma_f64 v[8:9], v[18:19], s[8:9], v[12:13]
	;; [unrolled: 1-line block ×4, first 2 shown]
	ds_write_b128 v57, v[0:3]
	ds_write_b128 v57, v[4:7] offset:1200
	ds_write_b128 v57, v[8:11] offset:2400
	s_waitcnt lgkmcnt(0)
	s_barrier
	s_and_b64 exec, exec, vcc
	s_cbranch_execz .LBB0_23
; %bb.22:
	global_load_dwordx4 v[0:3], v71, s[12:13]
	global_load_dwordx4 v[4:7], v71, s[12:13] offset:720
	global_load_dwordx4 v[8:11], v71, s[12:13] offset:1440
	;; [unrolled: 1-line block ×4, first 2 shown]
	v_mad_u64_u32 v[40:41], s[4:5], s2, v56, 0
	v_mad_u64_u32 v[42:43], s[8:9], s0, v69, 0
	v_mov_b32_e32 v47, s7
	s_mul_i32 s2, s1, 0x2d0
	s_mul_hi_u32 s7, s0, 0x2d0
	s_add_i32 s7, s7, s2
	v_mad_u64_u32 v[44:45], s[2:3], s3, v56, v[41:42]
	s_mul_i32 s8, s0, 0x2d0
	v_lshl_add_u32 v36, v70, 4, v71
	v_mad_u64_u32 v[45:46], s[0:1], s1, v69, v[43:44]
	v_mov_b32_e32 v41, v44
	v_lshlrev_b64 v[40:41], 4, v[40:41]
	v_mov_b32_e32 v43, v45
	v_lshlrev_b64 v[42:43], 4, v[42:43]
	v_add_co_u32_e32 v40, vcc, s6, v40
	v_addc_co_u32_e32 v41, vcc, v47, v41, vcc
	v_add_co_u32_e32 v40, vcc, v40, v42
	v_addc_co_u32_e32 v41, vcc, v41, v43, vcc
	ds_read_b128 v[20:23], v57
	ds_read_b128 v[24:27], v36 offset:720
	v_mov_b32_e32 v48, s7
	v_add_co_u32_e32 v42, vcc, s8, v40
	v_addc_co_u32_e32 v43, vcc, v41, v48, vcc
	v_mov_b32_e32 v49, s7
	v_add_co_u32_e32 v44, vcc, s8, v42
	ds_read_b128 v[28:31], v36 offset:1440
	ds_read_b128 v[32:35], v36 offset:2160
	;; [unrolled: 1-line block ×3, first 2 shown]
	v_addc_co_u32_e32 v45, vcc, v43, v49, vcc
	v_mov_b32_e32 v50, s7
	v_add_co_u32_e32 v46, vcc, s8, v44
	v_addc_co_u32_e32 v47, vcc, v45, v50, vcc
	s_mov_b32 s4, 0x789abcdf
	s_mov_b32 s5, 0x3f723456
	v_mov_b32_e32 v58, s7
	s_waitcnt vmcnt(4) lgkmcnt(4)
	v_mul_f64 v[48:49], v[22:23], v[2:3]
	v_mul_f64 v[2:3], v[20:21], v[2:3]
	s_waitcnt vmcnt(3) lgkmcnt(3)
	v_mul_f64 v[50:51], v[26:27], v[6:7]
	v_mul_f64 v[6:7], v[24:25], v[6:7]
	;; [unrolled: 3-line block ×5, first 2 shown]
	v_fma_f64 v[20:21], v[20:21], v[0:1], v[48:49]
	v_fma_f64 v[2:3], v[0:1], v[22:23], -v[2:3]
	v_fma_f64 v[22:23], v[24:25], v[4:5], v[50:51]
	v_fma_f64 v[6:7], v[4:5], v[26:27], -v[6:7]
	;; [unrolled: 2-line block ×5, first 2 shown]
	v_mul_f64 v[0:1], v[20:21], s[4:5]
	v_mul_f64 v[2:3], v[2:3], s[4:5]
	v_mul_f64 v[4:5], v[22:23], s[4:5]
	v_mul_f64 v[6:7], v[6:7], s[4:5]
	v_mul_f64 v[8:9], v[24:25], s[4:5]
	v_mul_f64 v[10:11], v[10:11], s[4:5]
	v_mul_f64 v[12:13], v[26:27], s[4:5]
	v_mul_f64 v[14:15], v[14:15], s[4:5]
	v_mul_f64 v[16:17], v[28:29], s[4:5]
	v_mul_f64 v[18:19], v[18:19], s[4:5]
	v_add_co_u32_e32 v20, vcc, s8, v46
	v_addc_co_u32_e32 v21, vcc, v47, v58, vcc
	global_store_dwordx4 v[40:41], v[0:3], off
	global_store_dwordx4 v[42:43], v[4:7], off
	;; [unrolled: 1-line block ×5, first 2 shown]
.LBB0_23:
	s_endpgm
	.section	.rodata,"a",@progbits
	.p2align	6, 0x0
	.amdhsa_kernel bluestein_single_fwd_len225_dim1_dp_op_CI_CI
		.amdhsa_group_segment_fixed_size 10800
		.amdhsa_private_segment_fixed_size 0
		.amdhsa_kernarg_size 104
		.amdhsa_user_sgpr_count 6
		.amdhsa_user_sgpr_private_segment_buffer 1
		.amdhsa_user_sgpr_dispatch_ptr 0
		.amdhsa_user_sgpr_queue_ptr 0
		.amdhsa_user_sgpr_kernarg_segment_ptr 1
		.amdhsa_user_sgpr_dispatch_id 0
		.amdhsa_user_sgpr_flat_scratch_init 0
		.amdhsa_user_sgpr_private_segment_size 0
		.amdhsa_uses_dynamic_stack 0
		.amdhsa_system_sgpr_private_segment_wavefront_offset 0
		.amdhsa_system_sgpr_workgroup_id_x 1
		.amdhsa_system_sgpr_workgroup_id_y 0
		.amdhsa_system_sgpr_workgroup_id_z 0
		.amdhsa_system_sgpr_workgroup_info 0
		.amdhsa_system_vgpr_workitem_id 0
		.amdhsa_next_free_vgpr 117
		.amdhsa_next_free_sgpr 20
		.amdhsa_reserve_vcc 1
		.amdhsa_reserve_flat_scratch 0
		.amdhsa_float_round_mode_32 0
		.amdhsa_float_round_mode_16_64 0
		.amdhsa_float_denorm_mode_32 3
		.amdhsa_float_denorm_mode_16_64 3
		.amdhsa_dx10_clamp 1
		.amdhsa_ieee_mode 1
		.amdhsa_fp16_overflow 0
		.amdhsa_exception_fp_ieee_invalid_op 0
		.amdhsa_exception_fp_denorm_src 0
		.amdhsa_exception_fp_ieee_div_zero 0
		.amdhsa_exception_fp_ieee_overflow 0
		.amdhsa_exception_fp_ieee_underflow 0
		.amdhsa_exception_fp_ieee_inexact 0
		.amdhsa_exception_int_div_zero 0
	.end_amdhsa_kernel
	.text
.Lfunc_end0:
	.size	bluestein_single_fwd_len225_dim1_dp_op_CI_CI, .Lfunc_end0-bluestein_single_fwd_len225_dim1_dp_op_CI_CI
                                        ; -- End function
	.section	.AMDGPU.csdata,"",@progbits
; Kernel info:
; codeLenInByte = 5820
; NumSgprs: 24
; NumVgprs: 117
; ScratchSize: 0
; MemoryBound: 0
; FloatMode: 240
; IeeeMode: 1
; LDSByteSize: 10800 bytes/workgroup (compile time only)
; SGPRBlocks: 2
; VGPRBlocks: 29
; NumSGPRsForWavesPerEU: 24
; NumVGPRsForWavesPerEU: 117
; Occupancy: 2
; WaveLimiterHint : 1
; COMPUTE_PGM_RSRC2:SCRATCH_EN: 0
; COMPUTE_PGM_RSRC2:USER_SGPR: 6
; COMPUTE_PGM_RSRC2:TRAP_HANDLER: 0
; COMPUTE_PGM_RSRC2:TGID_X_EN: 1
; COMPUTE_PGM_RSRC2:TGID_Y_EN: 0
; COMPUTE_PGM_RSRC2:TGID_Z_EN: 0
; COMPUTE_PGM_RSRC2:TIDIG_COMP_CNT: 0
	.type	__hip_cuid_2253bf8fae7596f0,@object ; @__hip_cuid_2253bf8fae7596f0
	.section	.bss,"aw",@nobits
	.globl	__hip_cuid_2253bf8fae7596f0
__hip_cuid_2253bf8fae7596f0:
	.byte	0                               ; 0x0
	.size	__hip_cuid_2253bf8fae7596f0, 1

	.ident	"AMD clang version 19.0.0git (https://github.com/RadeonOpenCompute/llvm-project roc-6.4.0 25133 c7fe45cf4b819c5991fe208aaa96edf142730f1d)"
	.section	".note.GNU-stack","",@progbits
	.addrsig
	.addrsig_sym __hip_cuid_2253bf8fae7596f0
	.amdgpu_metadata
---
amdhsa.kernels:
  - .args:
      - .actual_access:  read_only
        .address_space:  global
        .offset:         0
        .size:           8
        .value_kind:     global_buffer
      - .actual_access:  read_only
        .address_space:  global
        .offset:         8
        .size:           8
        .value_kind:     global_buffer
      - .actual_access:  read_only
        .address_space:  global
        .offset:         16
        .size:           8
        .value_kind:     global_buffer
      - .actual_access:  read_only
        .address_space:  global
        .offset:         24
        .size:           8
        .value_kind:     global_buffer
      - .actual_access:  read_only
        .address_space:  global
        .offset:         32
        .size:           8
        .value_kind:     global_buffer
      - .offset:         40
        .size:           8
        .value_kind:     by_value
      - .address_space:  global
        .offset:         48
        .size:           8
        .value_kind:     global_buffer
      - .address_space:  global
        .offset:         56
        .size:           8
        .value_kind:     global_buffer
      - .address_space:  global
        .offset:         64
        .size:           8
        .value_kind:     global_buffer
      - .address_space:  global
        .offset:         72
        .size:           8
        .value_kind:     global_buffer
      - .offset:         80
        .size:           4
        .value_kind:     by_value
      - .address_space:  global
        .offset:         88
        .size:           8
        .value_kind:     global_buffer
      - .address_space:  global
        .offset:         96
        .size:           8
        .value_kind:     global_buffer
    .group_segment_fixed_size: 10800
    .kernarg_segment_align: 8
    .kernarg_segment_size: 104
    .language:       OpenCL C
    .language_version:
      - 2
      - 0
    .max_flat_workgroup_size: 225
    .name:           bluestein_single_fwd_len225_dim1_dp_op_CI_CI
    .private_segment_fixed_size: 0
    .sgpr_count:     24
    .sgpr_spill_count: 0
    .symbol:         bluestein_single_fwd_len225_dim1_dp_op_CI_CI.kd
    .uniform_work_group_size: 1
    .uses_dynamic_stack: false
    .vgpr_count:     117
    .vgpr_spill_count: 0
    .wavefront_size: 64
amdhsa.target:   amdgcn-amd-amdhsa--gfx906
amdhsa.version:
  - 1
  - 2
...

	.end_amdgpu_metadata
